;; amdgpu-corpus repo=FlagOpen/FlagGems kind=triton arch=gfx950 opt=O3 lang=triton
	.amdgcn_target "amdgcn-amd-amdhsa--gfx950"
	.amdhsa_code_object_version 5
	.text
	.globl	swiglu_kernel                   ; -- Begin function swiglu_kernel
	.p2align	8
	.type	swiglu_kernel,@function
swiglu_kernel:                          ; @swiglu_kernel
.Lfunc_begin0:
	.cfi_sections .debug_frame
	.cfi_startproc
; %bb.97:
	.file	1 "/root/src/amdgpu-assembly/repos/FlagOpen__FlagGems/triton_aot_kernels" "swiglu_aot.py"
	.loc	1 10 0 prologue_end             ; swiglu_aot.py:10:0
	s_load_dwordx2 s[2:3], s[0:1], 0x0
	s_load_dwordx8 s[4:11], s[0:1], 0x8
	s_load_dwordx4 s[12:15], s[0:1], 0x28
	s_waitcnt lgkmcnt(0)
	s_branch .LBB0_0
	.loc	1 0 0 is_stmt 0                 ; :0:0
.Ltmp0:
	.p2align	8
; %bb.98:
.LBB0_0:
.Ltmp1:
	.loc	1 26 49 is_stmt 1               ; swiglu_aot.py:26:49
	v_readfirstlane_b32 s0, v0
	.loc	1 46 25                         ; swiglu_aot.py:46:25
	s_and_b32 s1, s0, 64
	.loc	1 25 21                         ; swiglu_aot.py:25:21
	s_lshl_b32 s12, s16, 5
	.loc	1 25 49 is_stmt 0               ; swiglu_aot.py:25:49
	s_bfe_u32 s0, s0, 0x10007
	v_and_or_b32 v0, v0, 63, s1
	.loc	1 25 36                         ; swiglu_aot.py:25:36
	s_or_b32 s89, s0, s12
	.loc	1 26 36 is_stmt 1               ; swiglu_aot.py:26:36
	v_lshl_or_b32 v2, s17, 7, v0
	.loc	1 28 30                         ; swiglu_aot.py:28:30
	s_cmp_lt_i32 s89, s6
	s_cselect_b64 s[0:1], -1, 0
	.loc	1 28 54 is_stmt 0               ; swiglu_aot.py:28:54
	v_cmp_gt_i32_e32 vcc, s7, v2
	.loc	1 28 36                         ; swiglu_aot.py:28:36
	s_and_b64 s[40:41], s[0:1], vcc
	.loc	1 31 38 is_stmt 1               ; swiglu_aot.py:31:38
	s_mul_i32 s0, s89, s8
	.loc	1 31 20 is_stmt 0               ; swiglu_aot.py:31:20
	s_ashr_i32 s1, s0, 31
	s_lshl_b64 s[0:1], s[0:1], 1
	s_add_u32 s44, s2, s0
	.loc	1 31 70                         ; swiglu_aot.py:31:70
	v_mul_lo_u32 v0, v2, s9
	.loc	1 40 18 is_stmt 1               ; swiglu_aot.py:40:18
	v_mov_b32_e32 v3, 0
	.loc	1 31 20                         ; swiglu_aot.py:31:20
	s_addc_u32 s45, s3, s1
	.loc	1 31 52 is_stmt 0               ; swiglu_aot.py:31:52
	v_ashrrev_i32_e32 v1, 31, v0
	v_mov_b32_e32 v24, v3
	.loc	1 40 18 is_stmt 1               ; swiglu_aot.py:40:18
	s_and_saveexec_b64 s[0:1], s[40:41]
	s_cbranch_execz .LBB0_2
; %bb.1:
	.loc	1 0 18 is_stmt 0                ; swiglu_aot.py:0:18
	v_lshl_add_u64 v[4:5], v[0:1], 1, s[44:45]
	.loc	1 40 18                         ; swiglu_aot.py:40:18
	global_load_ushort v24, v[4:5], off
.LBB0_2:
	.loc	1 0 18                          ; swiglu_aot.py:0:18
	s_or_b64 exec, exec, s[0:1]
	.loc	1 25 36 is_stmt 1               ; swiglu_aot.py:25:36
	s_or_b32 s90, s89, 2
	.loc	1 28 30                         ; swiglu_aot.py:28:30
	s_cmp_lt_i32 s90, s6
	s_cselect_b64 s[0:1], -1, 0
	.loc	1 28 36 is_stmt 0               ; swiglu_aot.py:28:36
	s_and_b64 s[42:43], vcc, s[0:1]
	.loc	1 31 38 is_stmt 1               ; swiglu_aot.py:31:38
	s_mul_i32 s0, s90, s8
	.loc	1 31 20 is_stmt 0               ; swiglu_aot.py:31:20
	s_ashr_i32 s1, s0, 31
	s_lshl_b64 s[0:1], s[0:1], 1
	s_add_u32 s46, s2, s0
	s_addc_u32 s47, s3, s1
	.loc	1 40 18 is_stmt 1               ; swiglu_aot.py:40:18
	s_and_saveexec_b64 s[0:1], s[42:43]
	s_cbranch_execz .LBB0_4
; %bb.3:
	.loc	1 31 52                         ; swiglu_aot.py:31:52
	v_lshl_add_u64 v[4:5], v[0:1], 1, s[46:47]
	.loc	1 40 18                         ; swiglu_aot.py:40:18
	global_load_ushort v3, v[4:5], off
.LBB0_4:
	.loc	1 0 18 is_stmt 0                ; swiglu_aot.py:0:18
	s_or_b64 exec, exec, s[0:1]
	.loc	1 25 36 is_stmt 1               ; swiglu_aot.py:25:36
	s_or_b32 s87, s89, 4
	.loc	1 28 30                         ; swiglu_aot.py:28:30
	s_cmp_lt_i32 s87, s6
	s_cselect_b64 s[0:1], -1, 0
	.loc	1 28 36 is_stmt 0               ; swiglu_aot.py:28:36
	s_and_b64 s[36:37], vcc, s[0:1]
	.loc	1 31 38 is_stmt 1               ; swiglu_aot.py:31:38
	s_mul_i32 s0, s87, s8
	.loc	1 31 20 is_stmt 0               ; swiglu_aot.py:31:20
	s_ashr_i32 s1, s0, 31
	s_lshl_b64 s[0:1], s[0:1], 1
	s_add_u32 s48, s2, s0
	.loc	1 40 18 is_stmt 1               ; swiglu_aot.py:40:18
	v_mov_b32_e32 v20, 0
	.loc	1 31 20                         ; swiglu_aot.py:31:20
	s_addc_u32 s49, s3, s1
	v_mov_b32_e32 v21, v20
	.loc	1 40 18                         ; swiglu_aot.py:40:18
	s_and_saveexec_b64 s[0:1], s[36:37]
	s_cbranch_execz .LBB0_6
; %bb.5:
	.loc	1 31 52                         ; swiglu_aot.py:31:52
	v_lshl_add_u64 v[4:5], v[0:1], 1, s[48:49]
	.loc	1 40 18                         ; swiglu_aot.py:40:18
	global_load_ushort v21, v[4:5], off
.LBB0_6:
	.loc	1 0 18 is_stmt 0                ; swiglu_aot.py:0:18
	s_or_b64 exec, exec, s[0:1]
	.loc	1 25 36 is_stmt 1               ; swiglu_aot.py:25:36
	s_or_b32 s88, s89, 6
	.loc	1 28 30                         ; swiglu_aot.py:28:30
	s_cmp_lt_i32 s88, s6
	s_cselect_b64 s[0:1], -1, 0
	.loc	1 28 36 is_stmt 0               ; swiglu_aot.py:28:36
	s_and_b64 s[38:39], vcc, s[0:1]
	.loc	1 31 38 is_stmt 1               ; swiglu_aot.py:31:38
	s_mul_i32 s0, s88, s8
	.loc	1 31 20 is_stmt 0               ; swiglu_aot.py:31:20
	s_ashr_i32 s1, s0, 31
	s_lshl_b64 s[0:1], s[0:1], 1
	s_add_u32 s50, s2, s0
	s_addc_u32 s51, s3, s1
	.loc	1 40 18 is_stmt 1               ; swiglu_aot.py:40:18
	s_and_saveexec_b64 s[0:1], s[38:39]
	s_cbranch_execz .LBB0_8
; %bb.7:
	.loc	1 31 52                         ; swiglu_aot.py:31:52
	v_lshl_add_u64 v[4:5], v[0:1], 1, s[50:51]
	.loc	1 40 18                         ; swiglu_aot.py:40:18
	global_load_ushort v20, v[4:5], off
.LBB0_8:
	.loc	1 0 18 is_stmt 0                ; swiglu_aot.py:0:18
	s_or_b64 exec, exec, s[0:1]
	.loc	1 25 36 is_stmt 1               ; swiglu_aot.py:25:36
	s_or_b32 s85, s89, 8
	.loc	1 28 30                         ; swiglu_aot.py:28:30
	s_cmp_lt_i32 s85, s6
	s_cselect_b64 s[0:1], -1, 0
	.loc	1 28 36 is_stmt 0               ; swiglu_aot.py:28:36
	s_and_b64 s[30:31], vcc, s[0:1]
	.loc	1 31 38 is_stmt 1               ; swiglu_aot.py:31:38
	s_mul_i32 s0, s85, s8
	.loc	1 31 20 is_stmt 0               ; swiglu_aot.py:31:20
	s_ashr_i32 s1, s0, 31
	s_lshl_b64 s[0:1], s[0:1], 1
	s_add_u32 s52, s2, s0
	.loc	1 40 18 is_stmt 1               ; swiglu_aot.py:40:18
	v_mov_b32_e32 v16, 0
	.loc	1 31 20                         ; swiglu_aot.py:31:20
	s_addc_u32 s53, s3, s1
	v_mov_b32_e32 v17, v16
	.loc	1 40 18                         ; swiglu_aot.py:40:18
	s_and_saveexec_b64 s[0:1], s[30:31]
	s_cbranch_execz .LBB0_10
; %bb.9:
	.loc	1 31 52                         ; swiglu_aot.py:31:52
	v_lshl_add_u64 v[4:5], v[0:1], 1, s[52:53]
	.loc	1 40 18                         ; swiglu_aot.py:40:18
	global_load_ushort v17, v[4:5], off
.LBB0_10:
	.loc	1 0 18 is_stmt 0                ; swiglu_aot.py:0:18
	;; [unrolled: 54-line block ×6, first 2 shown]
	s_or_b64 exec, exec, s[0:1]
	.loc	1 25 36 is_stmt 1               ; swiglu_aot.py:25:36
	s_or_b32 s78, s89, 26
	.loc	1 28 30                         ; swiglu_aot.py:28:30
	s_cmp_lt_i32 s78, s6
	s_cselect_b64 s[0:1], -1, 0
	.loc	1 28 36 is_stmt 0               ; swiglu_aot.py:28:36
	s_and_b64 s[16:17], vcc, s[0:1]
	.loc	1 31 38 is_stmt 1               ; swiglu_aot.py:31:38
	s_mul_i32 s0, s78, s8
	.loc	1 31 20 is_stmt 0               ; swiglu_aot.py:31:20
	s_ashr_i32 s1, s0, 31
	s_lshl_b64 s[0:1], s[0:1], 1
	s_add_u32 s70, s2, s0
	s_addc_u32 s71, s3, s1
	.loc	1 40 18 is_stmt 1               ; swiglu_aot.py:40:18
	s_and_saveexec_b64 s[0:1], s[16:17]
	s_cbranch_execz .LBB0_28
; %bb.27:
	.loc	1 31 52                         ; swiglu_aot.py:31:52
	v_lshl_add_u64 v[4:5], v[0:1], 1, s[70:71]
	.loc	1 40 18                         ; swiglu_aot.py:40:18
	global_load_ushort v6, v[4:5], off
.LBB0_28:
	.loc	1 0 18 is_stmt 0                ; swiglu_aot.py:0:18
	s_or_b64 exec, exec, s[0:1]
	.loc	1 25 36 is_stmt 1               ; swiglu_aot.py:25:36
	s_or_b32 s33, s89, 28
	.loc	1 28 30                         ; swiglu_aot.py:28:30
	s_cmp_lt_i32 s33, s6
	.loc	1 31 38                         ; swiglu_aot.py:31:38
	s_mul_i32 s12, s33, s8
	.loc	1 28 30                         ; swiglu_aot.py:28:30
	s_cselect_b64 s[0:1], -1, 0
	.loc	1 31 20                         ; swiglu_aot.py:31:20
	s_ashr_i32 s13, s12, 31
	.loc	1 28 36                         ; swiglu_aot.py:28:36
	s_and_b64 s[0:1], vcc, s[0:1]
	.loc	1 31 20                         ; swiglu_aot.py:31:20
	s_lshl_b64 s[12:13], s[12:13], 1
	s_add_u32 s72, s2, s12
	.loc	1 40 18                         ; swiglu_aot.py:40:18
	v_mov_b32_e32 v4, 0
	.loc	1 31 20                         ; swiglu_aot.py:31:20
	s_addc_u32 s73, s3, s13
	v_mov_b32_e32 v5, v4
	.loc	1 40 18                         ; swiglu_aot.py:40:18
	s_and_saveexec_b64 s[12:13], s[0:1]
	s_cbranch_execz .LBB0_30
; %bb.29:
	.loc	1 31 52                         ; swiglu_aot.py:31:52
	v_lshl_add_u64 v[12:13], v[0:1], 1, s[72:73]
	.loc	1 40 18                         ; swiglu_aot.py:40:18
	global_load_ushort v5, v[12:13], off
.LBB0_30:
	.loc	1 0 18 is_stmt 0                ; swiglu_aot.py:0:18
	s_or_b64 exec, exec, s[12:13]
	.loc	1 25 36 is_stmt 1               ; swiglu_aot.py:25:36
	s_or_b32 s76, s89, 30
	.loc	1 28 30                         ; swiglu_aot.py:28:30
	s_cmp_lt_i32 s76, s6
	.loc	1 31 38                         ; swiglu_aot.py:31:38
	s_mul_i32 s74, s76, s8
	.loc	1 28 30                         ; swiglu_aot.py:28:30
	s_cselect_b64 s[12:13], -1, 0
	.loc	1 31 20                         ; swiglu_aot.py:31:20
	s_ashr_i32 s75, s74, 31
	.loc	1 28 36                         ; swiglu_aot.py:28:36
	s_and_b64 s[12:13], vcc, s[12:13]
	.loc	1 31 20                         ; swiglu_aot.py:31:20
	s_lshl_b64 s[74:75], s[74:75], 1
	s_add_u32 s2, s2, s74
	s_addc_u32 s3, s3, s75
	.loc	1 40 18                         ; swiglu_aot.py:40:18
	s_and_saveexec_b64 s[74:75], s[12:13]
	s_cbranch_execz .LBB0_32
; %bb.31:
	.loc	1 31 52                         ; swiglu_aot.py:31:52
	v_lshl_add_u64 v[0:1], v[0:1], 1, s[2:3]
	.loc	1 40 18                         ; swiglu_aot.py:40:18
	global_load_ushort v4, v[0:1], off
.LBB0_32:
	.loc	1 0 18 is_stmt 0                ; swiglu_aot.py:0:18
	s_or_b64 exec, exec, s[74:75]
	.loc	1 34 71 is_stmt 1               ; swiglu_aot.py:34:71
	v_add_u32_e32 v0, s7, v2
	.loc	1 34 76 is_stmt 0               ; swiglu_aot.py:34:76
	v_mul_lo_u32 v0, v0, s9
	.loc	1 41 18 is_stmt 1               ; swiglu_aot.py:41:18
	v_mov_b32_e32 v34, 0
	.loc	1 34 52                         ; swiglu_aot.py:34:52
	v_ashrrev_i32_e32 v1, 31, v0
	v_mov_b32_e32 v33, v34
	.loc	1 41 18                         ; swiglu_aot.py:41:18
	s_and_saveexec_b64 s[6:7], s[40:41]
	s_cbranch_execz .LBB0_34
; %bb.33:
	.loc	1 34 52                         ; swiglu_aot.py:34:52
	v_lshl_add_u64 v[12:13], v[0:1], 1, s[44:45]
	.loc	1 41 18                         ; swiglu_aot.py:41:18
	global_load_ushort v33, v[12:13], off
.LBB0_34:
	.loc	1 0 18 is_stmt 0                ; swiglu_aot.py:0:18
	s_or_b64 exec, exec, s[6:7]
	.loc	1 41 18                         ; swiglu_aot.py:41:18
	s_and_saveexec_b64 s[6:7], s[42:43]
	s_cbranch_execz .LBB0_36
; %bb.35:
	.loc	1 34 52 is_stmt 1               ; swiglu_aot.py:34:52
	v_lshl_add_u64 v[12:13], v[0:1], 1, s[46:47]
	.loc	1 41 18                         ; swiglu_aot.py:41:18
	global_load_ushort v34, v[12:13], off
.LBB0_36:
	.loc	1 0 18 is_stmt 0                ; swiglu_aot.py:0:18
	s_or_b64 exec, exec, s[6:7]
	.loc	1 41 18                         ; swiglu_aot.py:41:18
	v_mov_b32_e32 v32, 0
	v_mov_b32_e32 v31, v32
	s_and_saveexec_b64 s[6:7], s[36:37]
	s_cbranch_execz .LBB0_38
; %bb.37:
	.loc	1 34 52 is_stmt 1               ; swiglu_aot.py:34:52
	v_lshl_add_u64 v[12:13], v[0:1], 1, s[48:49]
	.loc	1 41 18                         ; swiglu_aot.py:41:18
	global_load_ushort v31, v[12:13], off
.LBB0_38:
	.loc	1 0 18 is_stmt 0                ; swiglu_aot.py:0:18
	s_or_b64 exec, exec, s[6:7]
	.loc	1 41 18                         ; swiglu_aot.py:41:18
	s_and_saveexec_b64 s[6:7], s[38:39]
	s_cbranch_execz .LBB0_40
; %bb.39:
	.loc	1 34 52 is_stmt 1               ; swiglu_aot.py:34:52
	v_lshl_add_u64 v[12:13], v[0:1], 1, s[50:51]
	.loc	1 41 18                         ; swiglu_aot.py:41:18
	global_load_ushort v32, v[12:13], off
.LBB0_40:
	.loc	1 0 18 is_stmt 0                ; swiglu_aot.py:0:18
	s_or_b64 exec, exec, s[6:7]
	.loc	1 41 18                         ; swiglu_aot.py:41:18
	v_mov_b32_e32 v30, 0
	v_mov_b32_e32 v29, v30
	s_and_saveexec_b64 s[6:7], s[30:31]
	s_cbranch_execz .LBB0_42
; %bb.41:
	.loc	1 34 52 is_stmt 1               ; swiglu_aot.py:34:52
	v_lshl_add_u64 v[12:13], v[0:1], 1, s[52:53]
	.loc	1 41 18                         ; swiglu_aot.py:41:18
	global_load_ushort v29, v[12:13], off
.LBB0_42:
	;; [unrolled: 24-line block ×7, first 2 shown]
	.loc	1 0 18 is_stmt 0                ; swiglu_aot.py:0:18
	s_or_b64 exec, exec, s[6:7]
	.loc	1 41 18                         ; swiglu_aot.py:41:18
	s_and_saveexec_b64 s[6:7], s[12:13]
	s_cbranch_execz .LBB0_64
; %bb.63:
	.loc	1 34 52 is_stmt 1               ; swiglu_aot.py:34:52
	v_lshl_add_u64 v[0:1], v[0:1], 1, s[2:3]
	.loc	1 41 18                         ; swiglu_aot.py:41:18
	global_load_ushort v13, v[0:1], off
.LBB0_64:
	.loc	1 0 18 is_stmt 0                ; swiglu_aot.py:0:18
	s_or_b64 exec, exec, s[6:7]
	.loc	1 40 56 is_stmt 1               ; swiglu_aot.py:40:56
	s_waitcnt vmcnt(0)
	v_cvt_f32_f16_e32 v36, v24
	v_cvt_f32_f16_e32 v37, v3
	s_mov_b32 s2, 0x3fb8aa3b
	s_mov_b32 s3, 0xc2fc0000
.Ltmp2:
	.file	2 "/root/.local/lib/python3.13/site-packages/triton/language" "standard.py"
	.loc	2 50 29                         ; standard.py:50:29 @[ swiglu_aot.py:43:29 ]
	v_mul_f32_e64 v0, -v36, s2
	v_cmp_gt_f32_e32 vcc, s3, v0
	v_mov_b32_e32 v0, 0x42800000
	v_not_b32_e32 v1, 63
	v_cndmask_b32_e32 v38, 0, v0, vcc
	v_fma_mix_f32 v24, -v24, s2, v38 op_sel_hi:[1,0,0]
	v_mul_f32_e64 v38, -v37, s2
	v_cndmask_b32_e32 v35, 0, v1, vcc
	v_cmp_gt_f32_e32 vcc, s3, v38
	v_exp_f32_e32 v24, v24
	s_nop 0
	v_cndmask_b32_e32 v0, 0, v0, vcc
	v_fma_mix_f32 v0, -v3, s2, v0 op_sel_hi:[1,0,0]
	v_cndmask_b32_e32 v1, 0, v1, vcc
	v_exp_f32_e32 v3, v0
.Ltmp3:
	.loc	1 37 72                         ; swiglu_aot.py:37:72
	v_mul_lo_u32 v0, v2, s11
.Ltmp4:
	.loc	2 50 29                         ; standard.py:50:29 @[ swiglu_aot.py:43:29 ]
	v_ldexp_f32 v2, v24, v35
.Ltmp5:
	.loc	1 41 56                         ; swiglu_aot.py:41:56
	v_cvt_f32_f16_e32 v35, v34
.Ltmp6:
	.loc	2 50 29                         ; standard.py:50:29 @[ swiglu_aot.py:43:29 ]
	v_ldexp_f32 v3, v3, v1
	.loc	2 50 20 is_stmt 0               ; standard.py:50:20 @[ swiglu_aot.py:43:29 ]
	v_pk_add_f32 v[2:3], v[2:3], 1.0 op_sel_hi:[1,0]
.Ltmp7:
	.loc	1 41 56 is_stmt 1               ; swiglu_aot.py:41:56
	v_cvt_f32_f16_e32 v34, v33
.Ltmp8:
	.loc	2 50 16                         ; standard.py:50:16 @[ swiglu_aot.py:43:29 ]
	v_div_scale_f32 v24, s[2:3], v3, v3, 1.0
	v_rcp_f32_e32 v38, v24
.Ltmp9:
	.loc	1 37 54                         ; swiglu_aot.py:37:54
	v_ashrrev_i32_e32 v1, 31, v0
.Ltmp10:
	.loc	2 50 16                         ; standard.py:50:16 @[ swiglu_aot.py:43:29 ]
	v_fma_f32 v33, -v24, v38, 1.0
	v_fmac_f32_e32 v38, v33, v38
	v_div_scale_f32 v33, vcc, 1.0, v3, 1.0
	v_mul_f32_e32 v39, v33, v38
	v_fma_f32 v40, -v24, v39, v33
	v_fmac_f32_e32 v39, v40, v38
	v_fma_f32 v24, -v24, v39, v33
	v_div_scale_f32 v33, s[2:3], v2, v2, 1.0
	v_rcp_f32_e32 v40, v33
	v_div_fmas_f32 v24, v24, v38, v39
	v_div_fixup_f32 v3, v24, v3, 1.0
	v_fma_f32 v24, -v33, v40, 1.0
	v_fmac_f32_e32 v40, v24, v40
	v_div_scale_f32 v24, vcc, 1.0, v2, 1.0
	v_mul_f32_e32 v38, v24, v40
	v_fma_f32 v39, -v33, v38, v24
	v_fmac_f32_e32 v38, v39, v40
	v_fma_f32 v24, -v33, v38, v24
	v_div_fmas_f32 v24, v24, v40, v38
	v_div_fixup_f32 v2, v24, v2, 1.0
.Ltmp11:
	.loc	1 43 21                         ; swiglu_aot.py:43:21
	v_pk_mul_f32 v[2:3], v[2:3], v[36:37]
	.loc	1 44 21                         ; swiglu_aot.py:44:21
	s_nop 0
	v_pk_mul_f32 v[2:3], v[2:3], v[34:35]
	.loc	1 46 25                         ; swiglu_aot.py:46:25
	s_and_saveexec_b64 s[2:3], s[40:41]
	s_cbranch_execz .LBB0_66
; %bb.65:
	.loc	1 37 39                         ; swiglu_aot.py:37:39
	s_mul_i32 s6, s89, s10
	.loc	1 37 21 is_stmt 0               ; swiglu_aot.py:37:21
	s_ashr_i32 s7, s6, 31
	s_lshl_b64 s[6:7], s[6:7], 1
	v_cvt_f16_f32_e32 v2, v2
	s_add_u32 s6, s4, s6
	s_addc_u32 s7, s5, s7
	.loc	1 37 54                         ; swiglu_aot.py:37:54
	v_lshl_add_u64 v[34:35], v[0:1], 1, s[6:7]
	.loc	1 46 25 is_stmt 1               ; swiglu_aot.py:46:25
	global_store_short v[34:35], v2, off
.LBB0_66:
	.loc	1 0 25 is_stmt 0                ; swiglu_aot.py:0:25
	s_or_b64 exec, exec, s[2:3]
	.loc	1 46 25                         ; swiglu_aot.py:46:25
	s_and_saveexec_b64 s[2:3], s[42:43]
	s_cbranch_execz .LBB0_68
; %bb.67:
	.loc	1 37 39 is_stmt 1               ; swiglu_aot.py:37:39
	s_mul_i32 s6, s90, s10
	.loc	1 37 21 is_stmt 0               ; swiglu_aot.py:37:21
	s_ashr_i32 s7, s6, 31
	s_lshl_b64 s[6:7], s[6:7], 1
	v_cvt_f16_f32_e32 v24, v3
	s_add_u32 s6, s4, s6
	s_addc_u32 s7, s5, s7
	.loc	1 37 54                         ; swiglu_aot.py:37:54
	v_lshl_add_u64 v[2:3], v[0:1], 1, s[6:7]
	.loc	1 46 25 is_stmt 1               ; swiglu_aot.py:46:25
	global_store_short v[2:3], v24, off
.LBB0_68:
	.loc	1 0 25 is_stmt 0                ; swiglu_aot.py:0:25
	s_or_b64 exec, exec, s[2:3]
	.loc	1 40 56 is_stmt 1               ; swiglu_aot.py:40:56
	v_cvt_f32_f16_e32 v2, v21
	v_cvt_f32_f16_e32 v3, v20
	s_mov_b32 s2, 0x3fb8aa3b
	s_mov_b32 s3, 0xc2fc0000
.Ltmp12:
	.loc	2 50 29                         ; standard.py:50:29 @[ swiglu_aot.py:43:29 ]
	v_mul_f32_e64 v24, -v2, s2
	v_cmp_gt_f32_e32 vcc, s3, v24
	v_mov_b32_e32 v34, 0x42800000
	v_not_b32_e32 v33, 63
	v_cndmask_b32_e32 v35, 0, v34, vcc
	v_fma_mix_f32 v21, -v21, s2, v35 op_sel_hi:[1,0,0]
	v_mul_f32_e64 v35, -v3, s2
	v_cndmask_b32_e32 v24, 0, v33, vcc
	v_cmp_gt_f32_e32 vcc, s3, v35
	v_exp_f32_e32 v21, v21
	s_nop 0
	v_cndmask_b32_e32 v34, 0, v34, vcc
	v_fma_mix_f32 v20, -v20, s2, v34 op_sel_hi:[1,0,0]
	v_cndmask_b32_e32 v33, 0, v33, vcc
	v_exp_f32_e32 v34, v20
	v_ldexp_f32 v20, v21, v24
	v_ldexp_f32 v21, v34, v33
	.loc	2 50 20 is_stmt 0               ; standard.py:50:20 @[ swiglu_aot.py:43:29 ]
	v_pk_add_f32 v[20:21], v[20:21], 1.0 op_sel_hi:[1,0]
.Ltmp13:
	.loc	1 41 56 is_stmt 1               ; swiglu_aot.py:41:56
	v_cvt_f32_f16_e32 v33, v32
.Ltmp14:
	.loc	2 50 16                         ; standard.py:50:16 @[ swiglu_aot.py:43:29 ]
	v_div_scale_f32 v24, s[2:3], v21, v21, 1.0
	v_rcp_f32_e32 v34, v24
.Ltmp15:
	.loc	1 41 56                         ; swiglu_aot.py:41:56
	v_cvt_f32_f16_e32 v32, v31
.Ltmp16:
	.loc	2 50 16                         ; standard.py:50:16 @[ swiglu_aot.py:43:29 ]
	v_fma_f32 v31, -v24, v34, 1.0
	v_fmac_f32_e32 v34, v31, v34
	v_div_scale_f32 v31, vcc, 1.0, v21, 1.0
	v_mul_f32_e32 v35, v31, v34
	v_fma_f32 v36, -v24, v35, v31
	v_fmac_f32_e32 v35, v36, v34
	v_fma_f32 v24, -v24, v35, v31
	v_div_scale_f32 v31, s[2:3], v20, v20, 1.0
	v_rcp_f32_e32 v36, v31
	v_div_fmas_f32 v24, v24, v34, v35
	v_div_fixup_f32 v21, v24, v21, 1.0
	v_fma_f32 v24, -v31, v36, 1.0
	v_fmac_f32_e32 v36, v24, v36
	v_div_scale_f32 v24, vcc, 1.0, v20, 1.0
	v_mul_f32_e32 v34, v24, v36
	v_fma_f32 v35, -v31, v34, v24
	v_fmac_f32_e32 v34, v35, v36
	v_fma_f32 v24, -v31, v34, v24
	v_div_fmas_f32 v24, v24, v36, v34
	v_div_fixup_f32 v20, v24, v20, 1.0
.Ltmp17:
	.loc	1 43 21                         ; swiglu_aot.py:43:21
	v_pk_mul_f32 v[2:3], v[20:21], v[2:3]
	.loc	1 44 21                         ; swiglu_aot.py:44:21
	s_nop 0
	v_pk_mul_f32 v[2:3], v[2:3], v[32:33]
	.loc	1 46 25                         ; swiglu_aot.py:46:25
	s_and_saveexec_b64 s[2:3], s[36:37]
	s_cbranch_execz .LBB0_70
; %bb.69:
	.loc	1 37 39                         ; swiglu_aot.py:37:39
	s_mul_i32 s6, s87, s10
	.loc	1 37 21 is_stmt 0               ; swiglu_aot.py:37:21
	s_ashr_i32 s7, s6, 31
	s_lshl_b64 s[6:7], s[6:7], 1
	v_cvt_f16_f32_e32 v2, v2
	s_add_u32 s6, s4, s6
	s_addc_u32 s7, s5, s7
	.loc	1 37 54                         ; swiglu_aot.py:37:54
	v_lshl_add_u64 v[20:21], v[0:1], 1, s[6:7]
	.loc	1 46 25 is_stmt 1               ; swiglu_aot.py:46:25
	global_store_short v[20:21], v2, off
.LBB0_70:
	.loc	1 0 25 is_stmt 0                ; swiglu_aot.py:0:25
	s_or_b64 exec, exec, s[2:3]
	.loc	1 46 25                         ; swiglu_aot.py:46:25
	s_and_saveexec_b64 s[2:3], s[38:39]
	s_cbranch_execz .LBB0_72
; %bb.71:
	.loc	1 37 39 is_stmt 1               ; swiglu_aot.py:37:39
	s_mul_i32 s6, s88, s10
	.loc	1 37 21 is_stmt 0               ; swiglu_aot.py:37:21
	s_ashr_i32 s7, s6, 31
	s_lshl_b64 s[6:7], s[6:7], 1
	v_cvt_f16_f32_e32 v20, v3
	s_add_u32 s6, s4, s6
	s_addc_u32 s7, s5, s7
	.loc	1 37 54                         ; swiglu_aot.py:37:54
	v_lshl_add_u64 v[2:3], v[0:1], 1, s[6:7]
	.loc	1 46 25 is_stmt 1               ; swiglu_aot.py:46:25
	global_store_short v[2:3], v20, off
.LBB0_72:
	.loc	1 0 25 is_stmt 0                ; swiglu_aot.py:0:25
	s_or_b64 exec, exec, s[2:3]
	.loc	1 40 56 is_stmt 1               ; swiglu_aot.py:40:56
	v_cvt_f32_f16_e32 v2, v17
	v_cvt_f32_f16_e32 v3, v16
	s_mov_b32 s2, 0x3fb8aa3b
	s_mov_b32 s3, 0xc2fc0000
.Ltmp18:
	.loc	2 50 29                         ; standard.py:50:29 @[ swiglu_aot.py:43:29 ]
	v_mul_f32_e64 v20, -v2, s2
	v_cmp_gt_f32_e32 vcc, s3, v20
	v_mov_b32_e32 v24, 0x42800000
	v_not_b32_e32 v21, 63
	v_cndmask_b32_e32 v31, 0, v24, vcc
	v_fma_mix_f32 v17, -v17, s2, v31 op_sel_hi:[1,0,0]
	v_mul_f32_e64 v31, -v3, s2
	v_cndmask_b32_e32 v20, 0, v21, vcc
	v_cmp_gt_f32_e32 vcc, s3, v31
	v_exp_f32_e32 v17, v17
	s_nop 0
	v_cndmask_b32_e32 v24, 0, v24, vcc
	v_fma_mix_f32 v16, -v16, s2, v24 op_sel_hi:[1,0,0]
	v_cndmask_b32_e32 v21, 0, v21, vcc
	v_exp_f32_e32 v24, v16
	v_ldexp_f32 v16, v17, v20
.Ltmp19:
	.loc	1 41 56                         ; swiglu_aot.py:41:56
	v_cvt_f32_f16_e32 v20, v29
.Ltmp20:
	.loc	2 50 29                         ; standard.py:50:29 @[ swiglu_aot.py:43:29 ]
	v_ldexp_f32 v17, v24, v21
	.loc	2 50 20 is_stmt 0               ; standard.py:50:20 @[ swiglu_aot.py:43:29 ]
	v_pk_add_f32 v[16:17], v[16:17], 1.0 op_sel_hi:[1,0]
.Ltmp21:
	.loc	1 41 56 is_stmt 1               ; swiglu_aot.py:41:56
	v_cvt_f32_f16_e32 v21, v30
.Ltmp22:
	.loc	2 50 16                         ; standard.py:50:16 @[ swiglu_aot.py:43:29 ]
	v_div_scale_f32 v24, s[2:3], v17, v17, 1.0
	v_rcp_f32_e32 v31, v24
	s_nop 0
	v_fma_f32 v29, -v24, v31, 1.0
	v_fmac_f32_e32 v31, v29, v31
	v_div_scale_f32 v29, vcc, 1.0, v17, 1.0
	v_mul_f32_e32 v30, v29, v31
	v_fma_f32 v32, -v24, v30, v29
	v_fmac_f32_e32 v30, v32, v31
	v_fma_f32 v24, -v24, v30, v29
	v_div_scale_f32 v29, s[2:3], v16, v16, 1.0
	v_rcp_f32_e32 v32, v29
	v_div_fmas_f32 v24, v24, v31, v30
	v_div_fixup_f32 v17, v24, v17, 1.0
	v_fma_f32 v24, -v29, v32, 1.0
	v_fmac_f32_e32 v32, v24, v32
	v_div_scale_f32 v24, vcc, 1.0, v16, 1.0
	v_mul_f32_e32 v30, v24, v32
	v_fma_f32 v31, -v29, v30, v24
	v_fmac_f32_e32 v30, v31, v32
	v_fma_f32 v24, -v29, v30, v24
	v_div_fmas_f32 v24, v24, v32, v30
	v_div_fixup_f32 v16, v24, v16, 1.0
.Ltmp23:
	.loc	1 43 21                         ; swiglu_aot.py:43:21
	v_pk_mul_f32 v[2:3], v[16:17], v[2:3]
	.loc	1 44 21                         ; swiglu_aot.py:44:21
	s_nop 0
	v_pk_mul_f32 v[2:3], v[2:3], v[20:21]
	.loc	1 46 25                         ; swiglu_aot.py:46:25
	s_and_saveexec_b64 s[2:3], s[30:31]
	s_cbranch_execz .LBB0_74
; %bb.73:
	.loc	1 37 39                         ; swiglu_aot.py:37:39
	s_mul_i32 s6, s85, s10
	.loc	1 37 21 is_stmt 0               ; swiglu_aot.py:37:21
	s_ashr_i32 s7, s6, 31
	s_lshl_b64 s[6:7], s[6:7], 1
	v_cvt_f16_f32_e32 v2, v2
	s_add_u32 s6, s4, s6
	s_addc_u32 s7, s5, s7
	.loc	1 37 54                         ; swiglu_aot.py:37:54
	v_lshl_add_u64 v[16:17], v[0:1], 1, s[6:7]
	.loc	1 46 25 is_stmt 1               ; swiglu_aot.py:46:25
	global_store_short v[16:17], v2, off
.LBB0_74:
	.loc	1 0 25 is_stmt 0                ; swiglu_aot.py:0:25
	s_or_b64 exec, exec, s[2:3]
	.loc	1 46 25                         ; swiglu_aot.py:46:25
	s_and_saveexec_b64 s[2:3], s[34:35]
	s_cbranch_execz .LBB0_76
; %bb.75:
	.loc	1 37 39 is_stmt 1               ; swiglu_aot.py:37:39
	s_mul_i32 s6, s86, s10
	.loc	1 37 21 is_stmt 0               ; swiglu_aot.py:37:21
	s_ashr_i32 s7, s6, 31
	s_lshl_b64 s[6:7], s[6:7], 1
	v_cvt_f16_f32_e32 v16, v3
	s_add_u32 s6, s4, s6
	s_addc_u32 s7, s5, s7
	.loc	1 37 54                         ; swiglu_aot.py:37:54
	v_lshl_add_u64 v[2:3], v[0:1], 1, s[6:7]
	.loc	1 46 25 is_stmt 1               ; swiglu_aot.py:46:25
	global_store_short v[2:3], v16, off
.LBB0_76:
	.loc	1 0 25 is_stmt 0                ; swiglu_aot.py:0:25
	s_or_b64 exec, exec, s[2:3]
	.loc	1 40 56 is_stmt 1               ; swiglu_aot.py:40:56
	v_cvt_f32_f16_e32 v2, v15
	v_cvt_f32_f16_e32 v3, v14
	s_mov_b32 s2, 0x3fb8aa3b
	s_mov_b32 s3, 0xc2fc0000
.Ltmp24:
	.loc	2 50 29                         ; standard.py:50:29 @[ swiglu_aot.py:43:29 ]
	v_mul_f32_e64 v16, -v2, s2
	v_cmp_gt_f32_e32 vcc, s3, v16
	v_mov_b32_e32 v20, 0x42800000
	v_not_b32_e32 v17, 63
	v_cndmask_b32_e32 v21, 0, v20, vcc
	v_fma_mix_f32 v15, -v15, s2, v21 op_sel_hi:[1,0,0]
	v_mul_f32_e64 v21, -v3, s2
	v_cndmask_b32_e32 v16, 0, v17, vcc
	v_cmp_gt_f32_e32 vcc, s3, v21
	v_exp_f32_e32 v15, v15
	s_nop 0
	v_cndmask_b32_e32 v20, 0, v20, vcc
	v_fma_mix_f32 v14, -v14, s2, v20 op_sel_hi:[1,0,0]
	v_cndmask_b32_e32 v17, 0, v17, vcc
	v_exp_f32_e32 v20, v14
	v_ldexp_f32 v14, v15, v16
.Ltmp25:
	.loc	1 41 56                         ; swiglu_aot.py:41:56
	v_cvt_f32_f16_e32 v16, v27
.Ltmp26:
	.loc	2 50 29                         ; standard.py:50:29 @[ swiglu_aot.py:43:29 ]
	v_ldexp_f32 v15, v20, v17
	.loc	2 50 20 is_stmt 0               ; standard.py:50:20 @[ swiglu_aot.py:43:29 ]
	v_pk_add_f32 v[14:15], v[14:15], 1.0 op_sel_hi:[1,0]
.Ltmp27:
	.loc	1 41 56 is_stmt 1               ; swiglu_aot.py:41:56
	v_cvt_f32_f16_e32 v17, v28
.Ltmp28:
	.loc	2 50 16                         ; standard.py:50:16 @[ swiglu_aot.py:43:29 ]
	v_div_scale_f32 v20, s[2:3], v15, v15, 1.0
	v_rcp_f32_e32 v21, v20
	s_nop 0
	v_fma_f32 v24, -v20, v21, 1.0
	v_fmac_f32_e32 v21, v24, v21
	v_div_scale_f32 v24, vcc, 1.0, v15, 1.0
	v_mul_f32_e32 v27, v24, v21
	v_fma_f32 v28, -v20, v27, v24
	v_fmac_f32_e32 v27, v28, v21
	v_fma_f32 v20, -v20, v27, v24
	v_div_scale_f32 v24, s[2:3], v14, v14, 1.0
	v_rcp_f32_e32 v28, v24
	v_div_fmas_f32 v20, v20, v21, v27
	v_div_fixup_f32 v15, v20, v15, 1.0
	v_fma_f32 v20, -v24, v28, 1.0
	v_fmac_f32_e32 v28, v20, v28
	v_div_scale_f32 v20, vcc, 1.0, v14, 1.0
	v_mul_f32_e32 v21, v20, v28
	v_fma_f32 v27, -v24, v21, v20
	v_fmac_f32_e32 v21, v27, v28
	v_fma_f32 v20, -v24, v21, v20
	v_div_fmas_f32 v20, v20, v28, v21
	v_div_fixup_f32 v14, v20, v14, 1.0
.Ltmp29:
	.loc	1 43 21                         ; swiglu_aot.py:43:21
	v_pk_mul_f32 v[2:3], v[14:15], v[2:3]
	.loc	1 44 21                         ; swiglu_aot.py:44:21
	s_nop 0
	v_pk_mul_f32 v[2:3], v[2:3], v[16:17]
	.loc	1 46 25                         ; swiglu_aot.py:46:25
	s_and_saveexec_b64 s[2:3], s[26:27]
	s_cbranch_execz .LBB0_78
; %bb.77:
	.loc	1 37 39                         ; swiglu_aot.py:37:39
	s_mul_i32 s6, s83, s10
	.loc	1 37 21 is_stmt 0               ; swiglu_aot.py:37:21
	s_ashr_i32 s7, s6, 31
	s_lshl_b64 s[6:7], s[6:7], 1
	v_cvt_f16_f32_e32 v2, v2
	s_add_u32 s6, s4, s6
	s_addc_u32 s7, s5, s7
	.loc	1 37 54                         ; swiglu_aot.py:37:54
	v_lshl_add_u64 v[14:15], v[0:1], 1, s[6:7]
	.loc	1 46 25 is_stmt 1               ; swiglu_aot.py:46:25
	global_store_short v[14:15], v2, off
.LBB0_78:
	.loc	1 0 25 is_stmt 0                ; swiglu_aot.py:0:25
	s_or_b64 exec, exec, s[2:3]
	.loc	1 46 25                         ; swiglu_aot.py:46:25
	s_and_saveexec_b64 s[2:3], s[28:29]
	s_cbranch_execz .LBB0_80
; %bb.79:
	.loc	1 37 39 is_stmt 1               ; swiglu_aot.py:37:39
	s_mul_i32 s6, s84, s10
	.loc	1 37 21 is_stmt 0               ; swiglu_aot.py:37:21
	s_ashr_i32 s7, s6, 31
	s_lshl_b64 s[6:7], s[6:7], 1
	v_cvt_f16_f32_e32 v14, v3
	s_add_u32 s6, s4, s6
	s_addc_u32 s7, s5, s7
	.loc	1 37 54                         ; swiglu_aot.py:37:54
	v_lshl_add_u64 v[2:3], v[0:1], 1, s[6:7]
	.loc	1 46 25 is_stmt 1               ; swiglu_aot.py:46:25
	global_store_short v[2:3], v14, off
.LBB0_80:
	.loc	1 0 25 is_stmt 0                ; swiglu_aot.py:0:25
	s_or_b64 exec, exec, s[2:3]
	.loc	1 40 56 is_stmt 1               ; swiglu_aot.py:40:56
	v_cvt_f32_f16_e32 v2, v11
	v_cvt_f32_f16_e32 v3, v10
	s_mov_b32 s2, 0x3fb8aa3b
	s_mov_b32 s3, 0xc2fc0000
.Ltmp30:
	.loc	2 50 29                         ; standard.py:50:29 @[ swiglu_aot.py:43:29 ]
	v_mul_f32_e64 v14, -v2, s2
	v_cmp_gt_f32_e32 vcc, s3, v14
	v_mov_b32_e32 v16, 0x42800000
	v_not_b32_e32 v15, 63
	v_cndmask_b32_e32 v17, 0, v16, vcc
	v_fma_mix_f32 v11, -v11, s2, v17 op_sel_hi:[1,0,0]
	v_mul_f32_e64 v17, -v3, s2
	v_cndmask_b32_e32 v14, 0, v15, vcc
	v_cmp_gt_f32_e32 vcc, s3, v17
	v_exp_f32_e32 v11, v11
	s_nop 0
	v_cndmask_b32_e32 v16, 0, v16, vcc
	v_fma_mix_f32 v10, -v10, s2, v16 op_sel_hi:[1,0,0]
	v_cndmask_b32_e32 v15, 0, v15, vcc
	v_exp_f32_e32 v16, v10
	v_ldexp_f32 v10, v11, v14
.Ltmp31:
	.loc	1 41 56                         ; swiglu_aot.py:41:56
	v_cvt_f32_f16_e32 v14, v25
.Ltmp32:
	.loc	2 50 29                         ; standard.py:50:29 @[ swiglu_aot.py:43:29 ]
	v_ldexp_f32 v11, v16, v15
	.loc	2 50 20 is_stmt 0               ; standard.py:50:20 @[ swiglu_aot.py:43:29 ]
	v_pk_add_f32 v[10:11], v[10:11], 1.0 op_sel_hi:[1,0]
.Ltmp33:
	.loc	1 41 56 is_stmt 1               ; swiglu_aot.py:41:56
	v_cvt_f32_f16_e32 v15, v26
.Ltmp34:
	.loc	2 50 16                         ; standard.py:50:16 @[ swiglu_aot.py:43:29 ]
	v_div_scale_f32 v16, s[2:3], v11, v11, 1.0
	v_rcp_f32_e32 v17, v16
	s_nop 0
	v_fma_f32 v20, -v16, v17, 1.0
	v_fmac_f32_e32 v17, v20, v17
	v_div_scale_f32 v20, vcc, 1.0, v11, 1.0
	v_mul_f32_e32 v21, v20, v17
	v_fma_f32 v24, -v16, v21, v20
	v_fmac_f32_e32 v21, v24, v17
	v_fma_f32 v16, -v16, v21, v20
	v_div_scale_f32 v20, s[2:3], v10, v10, 1.0
	v_rcp_f32_e32 v24, v20
	v_div_fmas_f32 v16, v16, v17, v21
	v_div_fixup_f32 v11, v16, v11, 1.0
	v_fma_f32 v16, -v20, v24, 1.0
	v_fmac_f32_e32 v24, v16, v24
	v_div_scale_f32 v16, vcc, 1.0, v10, 1.0
	v_mul_f32_e32 v17, v16, v24
	v_fma_f32 v21, -v20, v17, v16
	v_fmac_f32_e32 v17, v21, v24
	v_fma_f32 v16, -v20, v17, v16
	v_div_fmas_f32 v16, v16, v24, v17
	v_div_fixup_f32 v10, v16, v10, 1.0
.Ltmp35:
	.loc	1 43 21                         ; swiglu_aot.py:43:21
	v_pk_mul_f32 v[2:3], v[10:11], v[2:3]
	.loc	1 44 21                         ; swiglu_aot.py:44:21
	s_nop 0
	v_pk_mul_f32 v[2:3], v[2:3], v[14:15]
	.loc	1 46 25                         ; swiglu_aot.py:46:25
	s_and_saveexec_b64 s[2:3], s[22:23]
	s_cbranch_execz .LBB0_82
; %bb.81:
	.loc	1 37 39                         ; swiglu_aot.py:37:39
	s_mul_i32 s6, s81, s10
	.loc	1 37 21 is_stmt 0               ; swiglu_aot.py:37:21
	s_ashr_i32 s7, s6, 31
	s_lshl_b64 s[6:7], s[6:7], 1
	v_cvt_f16_f32_e32 v2, v2
	s_add_u32 s6, s4, s6
	s_addc_u32 s7, s5, s7
	.loc	1 37 54                         ; swiglu_aot.py:37:54
	v_lshl_add_u64 v[10:11], v[0:1], 1, s[6:7]
	.loc	1 46 25 is_stmt 1               ; swiglu_aot.py:46:25
	global_store_short v[10:11], v2, off
.LBB0_82:
	.loc	1 0 25 is_stmt 0                ; swiglu_aot.py:0:25
	s_or_b64 exec, exec, s[2:3]
	.loc	1 46 25                         ; swiglu_aot.py:46:25
	s_and_saveexec_b64 s[2:3], s[24:25]
	s_cbranch_execz .LBB0_84
; %bb.83:
	.loc	1 37 39 is_stmt 1               ; swiglu_aot.py:37:39
	s_mul_i32 s6, s82, s10
	.loc	1 37 21 is_stmt 0               ; swiglu_aot.py:37:21
	s_ashr_i32 s7, s6, 31
	s_lshl_b64 s[6:7], s[6:7], 1
	v_cvt_f16_f32_e32 v10, v3
	s_add_u32 s6, s4, s6
	s_addc_u32 s7, s5, s7
	.loc	1 37 54                         ; swiglu_aot.py:37:54
	v_lshl_add_u64 v[2:3], v[0:1], 1, s[6:7]
	.loc	1 46 25 is_stmt 1               ; swiglu_aot.py:46:25
	global_store_short v[2:3], v10, off
.LBB0_84:
	.loc	1 0 25 is_stmt 0                ; swiglu_aot.py:0:25
	s_or_b64 exec, exec, s[2:3]
	.loc	1 40 56 is_stmt 1               ; swiglu_aot.py:40:56
	v_cvt_f32_f16_e32 v2, v9
	v_cvt_f32_f16_e32 v3, v8
	s_mov_b32 s2, 0x3fb8aa3b
	s_mov_b32 s3, 0xc2fc0000
.Ltmp36:
	.loc	2 50 29                         ; standard.py:50:29 @[ swiglu_aot.py:43:29 ]
	v_mul_f32_e64 v10, -v2, s2
	v_cmp_gt_f32_e32 vcc, s3, v10
	v_mov_b32_e32 v14, 0x42800000
	v_not_b32_e32 v11, 63
	v_cndmask_b32_e32 v15, 0, v14, vcc
	v_fma_mix_f32 v9, -v9, s2, v15 op_sel_hi:[1,0,0]
	v_mul_f32_e64 v15, -v3, s2
	v_cndmask_b32_e32 v10, 0, v11, vcc
	v_cmp_gt_f32_e32 vcc, s3, v15
	v_exp_f32_e32 v9, v9
	s_nop 0
	v_cndmask_b32_e32 v14, 0, v14, vcc
	v_fma_mix_f32 v8, -v8, s2, v14 op_sel_hi:[1,0,0]
	v_cndmask_b32_e32 v11, 0, v11, vcc
	v_exp_f32_e32 v14, v8
	v_ldexp_f32 v8, v9, v10
.Ltmp37:
	.loc	1 41 56                         ; swiglu_aot.py:41:56
	v_cvt_f32_f16_e32 v10, v22
.Ltmp38:
	.loc	2 50 29                         ; standard.py:50:29 @[ swiglu_aot.py:43:29 ]
	v_ldexp_f32 v9, v14, v11
	.loc	2 50 20 is_stmt 0               ; standard.py:50:20 @[ swiglu_aot.py:43:29 ]
	v_pk_add_f32 v[8:9], v[8:9], 1.0 op_sel_hi:[1,0]
.Ltmp39:
	.loc	1 41 56 is_stmt 1               ; swiglu_aot.py:41:56
	v_cvt_f32_f16_e32 v11, v23
.Ltmp40:
	.loc	2 50 16                         ; standard.py:50:16 @[ swiglu_aot.py:43:29 ]
	v_div_scale_f32 v14, s[2:3], v9, v9, 1.0
	v_rcp_f32_e32 v15, v14
	s_nop 0
	v_fma_f32 v16, -v14, v15, 1.0
	v_fmac_f32_e32 v15, v16, v15
	v_div_scale_f32 v16, vcc, 1.0, v9, 1.0
	v_mul_f32_e32 v17, v16, v15
	v_fma_f32 v20, -v14, v17, v16
	v_fmac_f32_e32 v17, v20, v15
	v_fma_f32 v14, -v14, v17, v16
	v_div_scale_f32 v16, s[2:3], v8, v8, 1.0
	v_rcp_f32_e32 v20, v16
	v_div_fmas_f32 v14, v14, v15, v17
	v_div_fixup_f32 v9, v14, v9, 1.0
	v_fma_f32 v14, -v16, v20, 1.0
	v_fmac_f32_e32 v20, v14, v20
	v_div_scale_f32 v14, vcc, 1.0, v8, 1.0
	v_mul_f32_e32 v15, v14, v20
	v_fma_f32 v17, -v16, v15, v14
	v_fmac_f32_e32 v15, v17, v20
	v_fma_f32 v14, -v16, v15, v14
	v_div_fmas_f32 v14, v14, v20, v15
	v_div_fixup_f32 v8, v14, v8, 1.0
.Ltmp41:
	.loc	1 43 21                         ; swiglu_aot.py:43:21
	v_pk_mul_f32 v[2:3], v[8:9], v[2:3]
	.loc	1 44 21                         ; swiglu_aot.py:44:21
	s_nop 0
	v_pk_mul_f32 v[2:3], v[2:3], v[10:11]
	.loc	1 46 25                         ; swiglu_aot.py:46:25
	s_and_saveexec_b64 s[2:3], s[18:19]
	s_cbranch_execz .LBB0_86
; %bb.85:
	.loc	1 37 39                         ; swiglu_aot.py:37:39
	s_mul_i32 s6, s79, s10
	.loc	1 37 21 is_stmt 0               ; swiglu_aot.py:37:21
	s_ashr_i32 s7, s6, 31
	s_lshl_b64 s[6:7], s[6:7], 1
	v_cvt_f16_f32_e32 v2, v2
	s_add_u32 s6, s4, s6
	s_addc_u32 s7, s5, s7
	.loc	1 37 54                         ; swiglu_aot.py:37:54
	v_lshl_add_u64 v[8:9], v[0:1], 1, s[6:7]
	.loc	1 46 25 is_stmt 1               ; swiglu_aot.py:46:25
	global_store_short v[8:9], v2, off
.LBB0_86:
	.loc	1 0 25 is_stmt 0                ; swiglu_aot.py:0:25
	s_or_b64 exec, exec, s[2:3]
	.loc	1 46 25                         ; swiglu_aot.py:46:25
	s_and_saveexec_b64 s[2:3], s[20:21]
	s_cbranch_execz .LBB0_88
; %bb.87:
	.loc	1 37 39 is_stmt 1               ; swiglu_aot.py:37:39
	s_mul_i32 s6, s80, s10
	.loc	1 37 21 is_stmt 0               ; swiglu_aot.py:37:21
	s_ashr_i32 s7, s6, 31
	s_lshl_b64 s[6:7], s[6:7], 1
	v_cvt_f16_f32_e32 v8, v3
	s_add_u32 s6, s4, s6
	s_addc_u32 s7, s5, s7
	.loc	1 37 54                         ; swiglu_aot.py:37:54
	v_lshl_add_u64 v[2:3], v[0:1], 1, s[6:7]
	.loc	1 46 25 is_stmt 1               ; swiglu_aot.py:46:25
	global_store_short v[2:3], v8, off
.LBB0_88:
	.loc	1 0 25 is_stmt 0                ; swiglu_aot.py:0:25
	s_or_b64 exec, exec, s[2:3]
	.loc	1 40 56 is_stmt 1               ; swiglu_aot.py:40:56
	v_cvt_f32_f16_e32 v2, v7
	v_cvt_f32_f16_e32 v3, v6
	s_mov_b32 s2, 0x3fb8aa3b
	s_mov_b32 s3, 0xc2fc0000
.Ltmp42:
	.loc	2 50 29                         ; standard.py:50:29 @[ swiglu_aot.py:43:29 ]
	v_mul_f32_e64 v8, -v2, s2
	v_cmp_gt_f32_e32 vcc, s3, v8
	v_mov_b32_e32 v10, 0x42800000
	v_not_b32_e32 v9, 63
	v_cndmask_b32_e32 v11, 0, v10, vcc
	v_fma_mix_f32 v7, -v7, s2, v11 op_sel_hi:[1,0,0]
	v_mul_f32_e64 v11, -v3, s2
	v_cndmask_b32_e32 v8, 0, v9, vcc
	v_cmp_gt_f32_e32 vcc, s3, v11
	v_exp_f32_e32 v7, v7
	s_nop 0
	v_cndmask_b32_e32 v10, 0, v10, vcc
	v_fma_mix_f32 v6, -v6, s2, v10 op_sel_hi:[1,0,0]
	v_cndmask_b32_e32 v9, 0, v9, vcc
	v_exp_f32_e32 v10, v6
	v_ldexp_f32 v6, v7, v8
.Ltmp43:
	.loc	1 41 56                         ; swiglu_aot.py:41:56
	v_cvt_f32_f16_e32 v8, v18
.Ltmp44:
	.loc	2 50 29                         ; standard.py:50:29 @[ swiglu_aot.py:43:29 ]
	v_ldexp_f32 v7, v10, v9
	.loc	2 50 20 is_stmt 0               ; standard.py:50:20 @[ swiglu_aot.py:43:29 ]
	v_pk_add_f32 v[6:7], v[6:7], 1.0 op_sel_hi:[1,0]
.Ltmp45:
	.loc	1 41 56 is_stmt 1               ; swiglu_aot.py:41:56
	v_cvt_f32_f16_e32 v9, v19
.Ltmp46:
	.loc	2 50 16                         ; standard.py:50:16 @[ swiglu_aot.py:43:29 ]
	v_div_scale_f32 v10, s[2:3], v7, v7, 1.0
	v_rcp_f32_e32 v11, v10
	s_nop 0
	v_fma_f32 v14, -v10, v11, 1.0
	v_fmac_f32_e32 v11, v14, v11
	v_div_scale_f32 v14, vcc, 1.0, v7, 1.0
	v_mul_f32_e32 v15, v14, v11
	v_fma_f32 v16, -v10, v15, v14
	v_fmac_f32_e32 v15, v16, v11
	v_fma_f32 v10, -v10, v15, v14
	v_div_scale_f32 v14, s[2:3], v6, v6, 1.0
	v_rcp_f32_e32 v16, v14
	v_div_fmas_f32 v10, v10, v11, v15
	v_div_fixup_f32 v7, v10, v7, 1.0
	v_fma_f32 v10, -v14, v16, 1.0
	v_fmac_f32_e32 v16, v10, v16
	v_div_scale_f32 v10, vcc, 1.0, v6, 1.0
	v_mul_f32_e32 v11, v10, v16
	v_fma_f32 v15, -v14, v11, v10
	v_fmac_f32_e32 v11, v15, v16
	v_fma_f32 v10, -v14, v11, v10
	v_div_fmas_f32 v10, v10, v16, v11
	v_div_fixup_f32 v6, v10, v6, 1.0
.Ltmp47:
	.loc	1 43 21                         ; swiglu_aot.py:43:21
	v_pk_mul_f32 v[2:3], v[6:7], v[2:3]
	.loc	1 44 21                         ; swiglu_aot.py:44:21
	s_nop 0
	v_pk_mul_f32 v[2:3], v[2:3], v[8:9]
	.loc	1 46 25                         ; swiglu_aot.py:46:25
	s_and_saveexec_b64 s[2:3], s[14:15]
	s_cbranch_execz .LBB0_90
; %bb.89:
	.loc	1 37 39                         ; swiglu_aot.py:37:39
	s_mul_i32 s6, s77, s10
	.loc	1 37 21 is_stmt 0               ; swiglu_aot.py:37:21
	s_ashr_i32 s7, s6, 31
	s_lshl_b64 s[6:7], s[6:7], 1
	v_cvt_f16_f32_e32 v2, v2
	s_add_u32 s6, s4, s6
	s_addc_u32 s7, s5, s7
	.loc	1 37 54                         ; swiglu_aot.py:37:54
	v_lshl_add_u64 v[6:7], v[0:1], 1, s[6:7]
	.loc	1 46 25 is_stmt 1               ; swiglu_aot.py:46:25
	global_store_short v[6:7], v2, off
.LBB0_90:
	.loc	1 0 25 is_stmt 0                ; swiglu_aot.py:0:25
	s_or_b64 exec, exec, s[2:3]
	.loc	1 46 25                         ; swiglu_aot.py:46:25
	s_and_saveexec_b64 s[2:3], s[16:17]
	s_cbranch_execz .LBB0_92
; %bb.91:
	.loc	1 37 39 is_stmt 1               ; swiglu_aot.py:37:39
	s_mul_i32 s6, s78, s10
	.loc	1 37 21 is_stmt 0               ; swiglu_aot.py:37:21
	s_ashr_i32 s7, s6, 31
	s_lshl_b64 s[6:7], s[6:7], 1
	v_cvt_f16_f32_e32 v6, v3
	s_add_u32 s6, s4, s6
	s_addc_u32 s7, s5, s7
	.loc	1 37 54                         ; swiglu_aot.py:37:54
	v_lshl_add_u64 v[2:3], v[0:1], 1, s[6:7]
	.loc	1 46 25 is_stmt 1               ; swiglu_aot.py:46:25
	global_store_short v[2:3], v6, off
.LBB0_92:
	.loc	1 0 25 is_stmt 0                ; swiglu_aot.py:0:25
	s_or_b64 exec, exec, s[2:3]
	.loc	1 40 56 is_stmt 1               ; swiglu_aot.py:40:56
	v_cvt_f32_f16_e32 v2, v5
	v_cvt_f32_f16_e32 v3, v4
	s_mov_b32 s2, 0x3fb8aa3b
	s_mov_b32 s3, 0xc2fc0000
.Ltmp48:
	.loc	2 50 29                         ; standard.py:50:29 @[ swiglu_aot.py:43:29 ]
	v_mul_f32_e64 v6, -v2, s2
	v_cmp_gt_f32_e32 vcc, s3, v6
	v_mov_b32_e32 v8, 0x42800000
	v_not_b32_e32 v7, 63
	v_cndmask_b32_e32 v9, 0, v8, vcc
	v_fma_mix_f32 v5, -v5, s2, v9 op_sel_hi:[1,0,0]
	v_mul_f32_e64 v9, -v3, s2
	v_cndmask_b32_e32 v6, 0, v7, vcc
	v_cmp_gt_f32_e32 vcc, s3, v9
	v_exp_f32_e32 v5, v5
	s_nop 0
	v_cndmask_b32_e32 v8, 0, v8, vcc
	v_fma_mix_f32 v4, -v4, s2, v8 op_sel_hi:[1,0,0]
	v_cndmask_b32_e32 v7, 0, v7, vcc
	v_exp_f32_e32 v8, v4
	v_ldexp_f32 v4, v5, v6
.Ltmp49:
	.loc	1 41 56                         ; swiglu_aot.py:41:56
	v_cvt_f32_f16_e32 v6, v12
.Ltmp50:
	.loc	2 50 29                         ; standard.py:50:29 @[ swiglu_aot.py:43:29 ]
	v_ldexp_f32 v5, v8, v7
	.loc	2 50 20 is_stmt 0               ; standard.py:50:20 @[ swiglu_aot.py:43:29 ]
	v_pk_add_f32 v[4:5], v[4:5], 1.0 op_sel_hi:[1,0]
.Ltmp51:
	.loc	1 41 56 is_stmt 1               ; swiglu_aot.py:41:56
	v_cvt_f32_f16_e32 v7, v13
.Ltmp52:
	.loc	2 50 16                         ; standard.py:50:16 @[ swiglu_aot.py:43:29 ]
	v_div_scale_f32 v8, s[2:3], v5, v5, 1.0
	v_rcp_f32_e32 v9, v8
	s_nop 0
	v_fma_f32 v10, -v8, v9, 1.0
	v_fmac_f32_e32 v9, v10, v9
	v_div_scale_f32 v10, vcc, 1.0, v5, 1.0
	v_mul_f32_e32 v11, v10, v9
	v_fma_f32 v12, -v8, v11, v10
	v_fmac_f32_e32 v11, v12, v9
	v_fma_f32 v8, -v8, v11, v10
	v_div_scale_f32 v10, s[2:3], v4, v4, 1.0
	v_rcp_f32_e32 v12, v10
	v_div_fmas_f32 v8, v8, v9, v11
	v_div_fixup_f32 v5, v8, v5, 1.0
	v_fma_f32 v8, -v10, v12, 1.0
	v_fmac_f32_e32 v12, v8, v12
	v_div_scale_f32 v8, vcc, 1.0, v4, 1.0
	v_mul_f32_e32 v9, v8, v12
	v_fma_f32 v11, -v10, v9, v8
	v_fmac_f32_e32 v9, v11, v12
	v_fma_f32 v8, -v10, v9, v8
	v_div_fmas_f32 v8, v8, v12, v9
	v_div_fixup_f32 v4, v8, v4, 1.0
.Ltmp53:
	.loc	1 43 21                         ; swiglu_aot.py:43:21
	v_pk_mul_f32 v[2:3], v[4:5], v[2:3]
	.loc	1 44 21                         ; swiglu_aot.py:44:21
	s_nop 0
	v_pk_mul_f32 v[2:3], v[2:3], v[6:7]
	.loc	1 46 25                         ; swiglu_aot.py:46:25
	s_and_saveexec_b64 s[2:3], s[0:1]
	s_cbranch_execnz .LBB0_95
; %bb.93:
	.loc	1 0 25 is_stmt 0                ; swiglu_aot.py:0:25
	s_or_b64 exec, exec, s[2:3]
	.loc	1 46 25                         ; swiglu_aot.py:46:25
	s_and_saveexec_b64 s[0:1], s[12:13]
	s_cbranch_execnz .LBB0_96
.LBB0_94:
	.loc	1 46 4                          ; swiglu_aot.py:46:4
	s_endpgm
.LBB0_95:
	.loc	1 37 39 is_stmt 1               ; swiglu_aot.py:37:39
	s_mul_i32 s0, s33, s10
	.loc	1 37 21 is_stmt 0               ; swiglu_aot.py:37:21
	s_ashr_i32 s1, s0, 31
	s_lshl_b64 s[0:1], s[0:1], 1
	v_cvt_f16_f32_e32 v2, v2
	s_add_u32 s0, s4, s0
	s_addc_u32 s1, s5, s1
	.loc	1 37 54                         ; swiglu_aot.py:37:54
	v_lshl_add_u64 v[4:5], v[0:1], 1, s[0:1]
	.loc	1 46 25 is_stmt 1               ; swiglu_aot.py:46:25
	global_store_short v[4:5], v2, off
	s_or_b64 exec, exec, s[2:3]
	s_and_saveexec_b64 s[0:1], s[12:13]
	s_cbranch_execz .LBB0_94
.LBB0_96:
	.loc	1 37 39                         ; swiglu_aot.py:37:39
	s_mul_i32 s0, s76, s10
	.loc	1 37 21 is_stmt 0               ; swiglu_aot.py:37:21
	s_ashr_i32 s1, s0, 31
	s_lshl_b64 s[0:1], s[0:1], 1
	v_cvt_f16_f32_e32 v2, v3
	s_add_u32 s0, s4, s0
	s_addc_u32 s1, s5, s1
	.loc	1 37 54                         ; swiglu_aot.py:37:54
	v_lshl_add_u64 v[0:1], v[0:1], 1, s[0:1]
	.loc	1 46 25 is_stmt 1               ; swiglu_aot.py:46:25
	global_store_short v[0:1], v2, off
	.loc	1 46 4 is_stmt 0                ; swiglu_aot.py:46:4
	s_endpgm
.Ltmp54:
	.section	.rodata,"a",@progbits
	.p2align	6, 0x0
	.amdhsa_kernel swiglu_kernel
		.amdhsa_group_segment_fixed_size 0
		.amdhsa_private_segment_fixed_size 0
		.amdhsa_kernarg_size 56
		.amdhsa_user_sgpr_count 16
		.amdhsa_user_sgpr_dispatch_ptr 0
		.amdhsa_user_sgpr_queue_ptr 0
		.amdhsa_user_sgpr_kernarg_segment_ptr 1
		.amdhsa_user_sgpr_dispatch_id 0
		.amdhsa_user_sgpr_kernarg_preload_length 14
		.amdhsa_user_sgpr_kernarg_preload_offset 0
		.amdhsa_user_sgpr_private_segment_size 0
		.amdhsa_uses_dynamic_stack 0
		.amdhsa_enable_private_segment 0
		.amdhsa_system_sgpr_workgroup_id_x 1
		.amdhsa_system_sgpr_workgroup_id_y 1
		.amdhsa_system_sgpr_workgroup_id_z 0
		.amdhsa_system_sgpr_workgroup_info 0
		.amdhsa_system_vgpr_workitem_id 0
		.amdhsa_next_free_vgpr 41
		.amdhsa_next_free_sgpr 91
		.amdhsa_accum_offset 44
		.amdhsa_reserve_vcc 1
		.amdhsa_reserve_xnack_mask 1
		.amdhsa_float_round_mode_32 0
		.amdhsa_float_round_mode_16_64 0
		.amdhsa_float_denorm_mode_32 3
		.amdhsa_float_denorm_mode_16_64 3
		.amdhsa_dx10_clamp 1
		.amdhsa_ieee_mode 1
		.amdhsa_fp16_overflow 0
		.amdhsa_tg_split 0
		.amdhsa_exception_fp_ieee_invalid_op 0
		.amdhsa_exception_fp_denorm_src 0
		.amdhsa_exception_fp_ieee_div_zero 0
		.amdhsa_exception_fp_ieee_overflow 0
		.amdhsa_exception_fp_ieee_underflow 0
		.amdhsa_exception_fp_ieee_inexact 0
		.amdhsa_exception_int_div_zero 0
	.end_amdhsa_kernel
	.text
.Lfunc_end0:
	.size	swiglu_kernel, .Lfunc_end0-swiglu_kernel
	.cfi_endproc
                                        ; -- End function
	.set swiglu_kernel.num_vgpr, 41
	.set swiglu_kernel.num_agpr, 0
	.set swiglu_kernel.numbered_sgpr, 91
	.set swiglu_kernel.num_named_barrier, 0
	.set swiglu_kernel.private_seg_size, 0
	.set swiglu_kernel.uses_vcc, 1
	.set swiglu_kernel.uses_flat_scratch, 0
	.set swiglu_kernel.has_dyn_sized_stack, 0
	.set swiglu_kernel.has_recursion, 0
	.set swiglu_kernel.has_indirect_call, 0
	.section	.AMDGPU.csdata,"",@progbits
; Kernel info:
; codeLenInByte = 5212
; TotalNumSgprs: 97
; NumVgprs: 41
; NumAgprs: 0
; TotalNumVgprs: 41
; ScratchSize: 0
; MemoryBound: 0
; FloatMode: 240
; IeeeMode: 1
; LDSByteSize: 0 bytes/workgroup (compile time only)
; SGPRBlocks: 12
; VGPRBlocks: 5
; NumSGPRsForWavesPerEU: 97
; NumVGPRsForWavesPerEU: 41
; AccumOffset: 44
; Occupancy: 8
; WaveLimiterHint : 0
; COMPUTE_PGM_RSRC2:SCRATCH_EN: 0
; COMPUTE_PGM_RSRC2:USER_SGPR: 16
; COMPUTE_PGM_RSRC2:TRAP_HANDLER: 0
; COMPUTE_PGM_RSRC2:TGID_X_EN: 1
; COMPUTE_PGM_RSRC2:TGID_Y_EN: 1
; COMPUTE_PGM_RSRC2:TGID_Z_EN: 0
; COMPUTE_PGM_RSRC2:TIDIG_COMP_CNT: 0
; COMPUTE_PGM_RSRC3_GFX90A:ACCUM_OFFSET: 10
; COMPUTE_PGM_RSRC3_GFX90A:TG_SPLIT: 0
	.text
	.p2alignl 6, 3212836864
	.fill 256, 4, 3212836864
	.section	.AMDGPU.gpr_maximums,"",@progbits
	.set amdgpu.max_num_vgpr, 0
	.set amdgpu.max_num_agpr, 0
	.set amdgpu.max_num_sgpr, 0
	.set amdgpu.max_num_named_barrier, 0
	.text
	.section	.debug_abbrev,"",@progbits
	.byte	1                               ; Abbreviation Code
	.byte	17                              ; DW_TAG_compile_unit
	.byte	1                               ; DW_CHILDREN_yes
	.byte	37                              ; DW_AT_producer
	.byte	14                              ; DW_FORM_strp
	.byte	19                              ; DW_AT_language
	.byte	5                               ; DW_FORM_data2
	.byte	3                               ; DW_AT_name
	.byte	14                              ; DW_FORM_strp
	.byte	16                              ; DW_AT_stmt_list
	.byte	23                              ; DW_FORM_sec_offset
	.byte	27                              ; DW_AT_comp_dir
	.byte	14                              ; DW_FORM_strp
	.byte	17                              ; DW_AT_low_pc
	.byte	1                               ; DW_FORM_addr
	.byte	18                              ; DW_AT_high_pc
	.byte	6                               ; DW_FORM_data4
	.byte	0                               ; EOM(1)
	.byte	0                               ; EOM(2)
	.byte	2                               ; Abbreviation Code
	.byte	46                              ; DW_TAG_subprogram
	.byte	0                               ; DW_CHILDREN_no
	.byte	3                               ; DW_AT_name
	.byte	14                              ; DW_FORM_strp
	.byte	32                              ; DW_AT_inline
	.byte	11                              ; DW_FORM_data1
	.byte	0                               ; EOM(1)
	.byte	0                               ; EOM(2)
	.byte	3                               ; Abbreviation Code
	.byte	46                              ; DW_TAG_subprogram
	.byte	1                               ; DW_CHILDREN_yes
	.byte	17                              ; DW_AT_low_pc
	.byte	1                               ; DW_FORM_addr
	.byte	18                              ; DW_AT_high_pc
	.byte	6                               ; DW_FORM_data4
	.byte	49                              ; DW_AT_abstract_origin
	.byte	19                              ; DW_FORM_ref4
	.byte	0                               ; EOM(1)
	.byte	0                               ; EOM(2)
	.byte	4                               ; Abbreviation Code
	.byte	29                              ; DW_TAG_inlined_subroutine
	.byte	0                               ; DW_CHILDREN_no
	.byte	49                              ; DW_AT_abstract_origin
	.byte	19                              ; DW_FORM_ref4
	.byte	85                              ; DW_AT_ranges
	.byte	23                              ; DW_FORM_sec_offset
	.byte	88                              ; DW_AT_call_file
	.byte	11                              ; DW_FORM_data1
	.byte	89                              ; DW_AT_call_line
	.byte	11                              ; DW_FORM_data1
	.byte	87                              ; DW_AT_call_column
	.byte	11                              ; DW_FORM_data1
	.byte	0                               ; EOM(1)
	.byte	0                               ; EOM(2)
	;; [unrolled: 1-line block ×3, first 2 shown]
	.section	.debug_info,"",@progbits
.Lcu_begin0:
	.long	.Ldebug_info_end0-.Ldebug_info_start0 ; Length of Unit
.Ldebug_info_start0:
	.short	4                               ; DWARF version number
	.long	.debug_abbrev                   ; Offset Into Abbrev. Section
	.byte	8                               ; Address Size (in bytes)
	.byte	1                               ; Abbrev [1] 0xb:0x44 DW_TAG_compile_unit
	.long	.Linfo_string0                  ; DW_AT_producer
	.short	2                               ; DW_AT_language
	.long	.Linfo_string1                  ; DW_AT_name
	.long	.Lline_table_start0             ; DW_AT_stmt_list
	.long	.Linfo_string2                  ; DW_AT_comp_dir
	.quad	.Lfunc_begin0                   ; DW_AT_low_pc
	.long	.Lfunc_end0-.Lfunc_begin0       ; DW_AT_high_pc
	.byte	2                               ; Abbrev [2] 0x2a:0x6 DW_TAG_subprogram
	.long	.Linfo_string3                  ; DW_AT_name
	.byte	1                               ; DW_AT_inline
	.byte	3                               ; Abbrev [3] 0x30:0x1e DW_TAG_subprogram
	.quad	.Lfunc_begin0                   ; DW_AT_low_pc
	.long	.Lfunc_end0-.Lfunc_begin0       ; DW_AT_high_pc
	.long	42                              ; DW_AT_abstract_origin
	.byte	4                               ; Abbrev [4] 0x41:0xc DW_TAG_inlined_subroutine
	.long	42                              ; DW_AT_abstract_origin
	.long	.Ldebug_ranges0                 ; DW_AT_ranges
	.byte	1                               ; DW_AT_call_file
	.byte	43                              ; DW_AT_call_line
	.byte	29                              ; DW_AT_call_column
	.byte	0                               ; End Of Children Mark
	.byte	0                               ; End Of Children Mark
.Ldebug_info_end0:
	.section	.debug_ranges,"",@progbits
.Ldebug_ranges0:
	.quad	.Ltmp2-.Lfunc_begin0
	.quad	.Ltmp3-.Lfunc_begin0
	;; [unrolled: 1-line block ×52, first 2 shown]
	.quad	0
	.quad	0
	.section	.debug_str,"MS",@progbits,1
.Linfo_string0:
	.asciz	"triton"                        ; string offset=0
.Linfo_string1:
	.asciz	"swiglu_aot.py"                 ; string offset=7
.Linfo_string2:
	.asciz	"/root/src/amdgpu-assembly/repos/FlagOpen__FlagGems/triton_aot_kernels" ; string offset=21
.Linfo_string3:
	.asciz	"swiglu_kernel"                 ; string offset=91
	.section	".note.GNU-stack","",@progbits
	.amdgpu_metadata
---
amdhsa.kernels:
  - .agpr_count:     0
    .args:
      - .address_space:  global
        .offset:         0
        .size:           8
        .value_kind:     global_buffer
      - .address_space:  global
        .offset:         8
        .size:           8
        .value_kind:     global_buffer
      - .offset:         16
        .size:           4
        .value_kind:     by_value
      - .offset:         20
        .size:           4
        .value_kind:     by_value
      - .offset:         24
        .size:           4
        .value_kind:     by_value
      - .offset:         28
        .size:           4
        .value_kind:     by_value
      - .offset:         32
        .size:           4
        .value_kind:     by_value
      - .offset:         36
        .size:           4
        .value_kind:     by_value
      - .address_space:  global
        .offset:         40
        .size:           8
        .value_kind:     global_buffer
      - .address_space:  global
        .offset:         48
        .size:           8
        .value_kind:     global_buffer
    .group_segment_fixed_size: 0
    .kernarg_segment_align: 8
    .kernarg_segment_size: 56
    .max_flat_workgroup_size: 256
    .name:           swiglu_kernel
    .private_segment_fixed_size: 0
    .sgpr_count:     97
    .sgpr_spill_count: 0
    .symbol:         swiglu_kernel.kd
    .uniform_work_group_size: 1
    .uses_dynamic_stack: false
    .vgpr_count:     41
    .vgpr_spill_count: 0
    .wavefront_size: 64
amdhsa.target:   amdgcn-amd-amdhsa--gfx950
amdhsa.version:
  - 1
  - 2
...

	.end_amdgpu_metadata
	.section	.debug_line,"",@progbits
.Lline_table_start0:
